;; amdgpu-corpus repo=llvm/llvm-project kind=harvested arch=n/a opt=n/a
// NOTE: Assertions have been autogenerated by utils/update_mc_test_checks.py UTC_ARGS: --unique --sort --version 6
// RUN: not llvm-mc -triple=amdgcn -mcpu=gfx900 %s -filetype=null 2>&1 | FileCheck %s --check-prefix=NOGFX9 --implicit-check-not=error:

//---------------------------------------------------------------------------//
// lds_direct may be used only with vector ALU instructions
//---------------------------------------------------------------------------//

//---------------------------------------------------------------------------//
// lds_direct may not be used with "REV" opcodes
//---------------------------------------------------------------------------//

//---------------------------------------------------------------------------//
// lds_direct may not be used with v_writelane_b32 for VI/GFX9
//---------------------------------------------------------------------------//

//---------------------------------------------------------------------------//
// lds_direct cannot be used with 64-bit and larger operands
//---------------------------------------------------------------------------//

//---------------------------------------------------------------------------//
// Only SRC0 may specify lds_direct
//---------------------------------------------------------------------------//

s_and_b32 s2, lds_direct, s1
// NOGFX9: :[[@LINE-1]]:15: error: invalid operand for instruction

v_add_f64 v[0:1], lds_direct, v[0:1]
// NOGFX9: :[[@LINE-1]]:19: error: invalid operand for instruction

v_add_i32 lds_direct, v0, v0
// NOGFX9: :[[@LINE-1]]:11: error: invalid operand for instruction

v_add_i32 v0, v0, lds_direct
// NOGFX9: :[[@LINE-1]]:19: error: lds_direct may be used as src0 only

v_ashrrev_i16 v0, lds_direct, v0
// NOGFX9: :[[@LINE-1]]:19: error: lds_direct cannot be used with this instruction

v_ashrrev_i32 v0, lds_direct, v0
// NOGFX9: :[[@LINE-1]]:19: error: lds_direct cannot be used with this instruction

v_fma_f32 v0, v0, v0, lds_direct
// NOGFX9: :[[@LINE-1]]:23: error: lds_direct may be used as src0 only

v_lshlrev_b16 v0, lds_direct, v0
// NOGFX9: :[[@LINE-1]]:19: error: lds_direct cannot be used with this instruction

v_lshlrev_b32 v0, lds_direct, v0
// NOGFX9: :[[@LINE-1]]:19: error: lds_direct cannot be used with this instruction

v_lshrrev_b16 v0, lds_direct, v0
// NOGFX9: :[[@LINE-1]]:19: error: lds_direct cannot be used with this instruction

v_lshrrev_b32 v0, lds_direct, v0
// NOGFX9: :[[@LINE-1]]:19: error: lds_direct cannot be used with this instruction

v_pk_ashrrev_i16 v0, lds_direct, v0
// NOGFX9: :[[@LINE-1]]:22: error: lds_direct cannot be used with this instruction

v_pk_lshlrev_b16 v0, lds_direct, v0
// NOGFX9: :[[@LINE-1]]:22: error: lds_direct cannot be used with this instruction

v_pk_lshrrev_b16 v0, lds_direct, v0
// NOGFX9: :[[@LINE-1]]:22: error: lds_direct cannot be used with this instruction

v_subbrev_co_u32 v0, vcc, src_lds_direct, v0, vcc
// NOGFX9: :[[@LINE-1]]:27: error: lds_direct cannot be used with this instruction

v_subrev_co_u32 v0, vcc, src_lds_direct, v0
// NOGFX9: :[[@LINE-1]]:26: error: lds_direct cannot be used with this instruction

v_subrev_f16 v0, src_lds_direct, v0
// NOGFX9: :[[@LINE-1]]:18: error: lds_direct cannot be used with this instruction

v_subrev_u16 v0, src_lds_direct, v0
// NOGFX9: :[[@LINE-1]]:18: error: lds_direct cannot be used with this instruction

v_subrev_u32 v0, src_lds_direct, v0
// NOGFX9: :[[@LINE-1]]:18: error: lds_direct cannot be used with this instruction

v_writelane_b32 v0, lds_direct, s0
// NOGFX9: :[[@LINE-1]]:1: error: operands are not valid for this GPU or mode
